;; amdgpu-corpus repo=ROCm/rocFFT kind=compiled arch=gfx1030 opt=O3
	.text
	.amdgcn_target "amdgcn-amd-amdhsa--gfx1030"
	.amdhsa_code_object_version 6
	.protected	bluestein_single_back_len900_dim1_sp_op_CI_CI ; -- Begin function bluestein_single_back_len900_dim1_sp_op_CI_CI
	.globl	bluestein_single_back_len900_dim1_sp_op_CI_CI
	.p2align	8
	.type	bluestein_single_back_len900_dim1_sp_op_CI_CI,@function
bluestein_single_back_len900_dim1_sp_op_CI_CI: ; @bluestein_single_back_len900_dim1_sp_op_CI_CI
; %bb.0:
	s_load_dwordx4 s[12:15], s[4:5], 0x28
	v_mul_u32_u24_e32 v1, 0x2d9, v0
	v_mov_b32_e32 v65, 0
	s_mov_b32 s0, exec_lo
	v_lshrrev_b32_e32 v1, 16, v1
	v_lshl_add_u32 v64, s6, 1, v1
	s_waitcnt lgkmcnt(0)
	v_cmpx_gt_u64_e64 s[12:13], v[64:65]
	s_cbranch_execz .LBB0_18
; %bb.1:
	s_clause 0x1
	s_load_dwordx4 s[8:11], s[4:5], 0x18
	s_load_dwordx4 s[0:3], s[4:5], 0x0
	v_mul_lo_u16 v2, 0x5a, v1
	v_and_b32_e32 v1, 1, v1
	s_load_dwordx2 s[4:5], s[4:5], 0x38
	v_sub_nc_u16 v16, v0, v2
	v_and_b32_e32 v65, 0xffff, v16
	v_lshlrev_b32_e32 v0, 3, v65
	s_waitcnt lgkmcnt(0)
	s_load_dwordx4 s[16:19], s[8:9], 0x0
	s_clause 0x2
	global_load_dwordx2 v[81:82], v0, s[0:1]
	global_load_dwordx2 v[79:80], v0, s[0:1] offset:720
	global_load_dwordx2 v[67:68], v0, s[0:1] offset:1440
	v_add_co_u32 v107, s6, s0, v0
	v_add_co_ci_u32_e64 v108, null, s1, 0, s6
	s_waitcnt lgkmcnt(0)
	v_mad_u64_u32 v[2:3], null, s18, v64, 0
	v_mad_u64_u32 v[4:5], null, s16, v65, 0
	s_mul_i32 s0, s17, 0x2d0
	s_mul_hi_u32 s1, s16, 0x2d0
	s_mul_i32 s6, s16, 0x2d0
	s_add_i32 s1, s1, s0
	s_mov_b32 s0, 0
	v_mad_u64_u32 v[6:7], null, s19, v64, v[3:4]
	v_mad_u64_u32 v[7:8], null, s17, v65, v[5:6]
	v_mov_b32_e32 v3, v6
	v_add_co_u32 v8, vcc_lo, 0x800, v107
	v_add_co_ci_u32_e32 v9, vcc_lo, 0, v108, vcc_lo
	v_add_co_u32 v10, vcc_lo, 0x1000, v107
	v_mov_b32_e32 v5, v7
	v_lshlrev_b64 v[2:3], 3, v[2:3]
	v_add_co_ci_u32_e32 v11, vcc_lo, 0, v108, vcc_lo
	v_add_co_u32 v89, vcc_lo, 0x1800, v107
	v_add_co_ci_u32_e32 v90, vcc_lo, 0, v108, vcc_lo
	v_lshlrev_b64 v[4:5], 3, v[4:5]
	v_add_co_u32 v2, vcc_lo, s14, v2
	v_add_co_ci_u32_e32 v3, vcc_lo, s15, v3, vcc_lo
	s_clause 0x2
	global_load_dwordx2 v[85:86], v[8:9], off offset:112
	global_load_dwordx2 v[83:84], v[8:9], off offset:832
	;; [unrolled: 1-line block ×3, first 2 shown]
	v_add_co_u32 v2, vcc_lo, v2, v4
	v_add_co_ci_u32_e32 v3, vcc_lo, v3, v5, vcc_lo
	s_clause 0x1
	global_load_dwordx2 v[77:78], v[10:11], off offset:224
	global_load_dwordx2 v[69:70], v[10:11], off offset:944
	v_add_co_u32 v4, vcc_lo, v2, s6
	v_add_co_ci_u32_e32 v5, vcc_lo, s1, v3, vcc_lo
	v_add_co_u32 v6, vcc_lo, v4, s6
	v_add_co_ci_u32_e32 v7, vcc_lo, s1, v5, vcc_lo
	s_clause 0x1
	global_load_dwordx2 v[2:3], v[2:3], off
	global_load_dwordx2 v[4:5], v[4:5], off
	v_add_co_u32 v8, vcc_lo, v6, s6
	v_add_co_ci_u32_e32 v9, vcc_lo, s1, v7, vcc_lo
	v_add_co_u32 v12, vcc_lo, v8, s6
	v_add_co_ci_u32_e32 v13, vcc_lo, s1, v9, vcc_lo
	s_clause 0x1
	global_load_dwordx2 v[6:7], v[6:7], off
	global_load_dwordx2 v[8:9], v[8:9], off
	v_add_co_u32 v14, vcc_lo, v12, s6
	v_add_co_ci_u32_e32 v15, vcc_lo, s1, v13, vcc_lo
	global_load_dwordx2 v[12:13], v[12:13], off
	v_add_co_u32 v17, vcc_lo, v14, s6
	v_add_co_ci_u32_e32 v18, vcc_lo, s1, v15, vcc_lo
	;; [unrolled: 3-line block ×5, first 2 shown]
	global_load_dwordx2 v[71:72], v[10:11], off offset:1664
	global_load_dwordx2 v[10:11], v[17:18], off
	global_load_dwordx2 v[73:74], v[89:90], off offset:336
	global_load_dwordx2 v[25:26], v[19:20], off
	v_cmp_eq_u32_e32 vcc_lo, 1, v1
	v_and_b32_e32 v17, 0xff, v16
	s_load_dwordx4 s[8:11], s[10:11], 0x0
	v_cndmask_b32_e64 v1, 0, 0x384, vcc_lo
	v_cmp_gt_u16_e32 vcc_lo, 30, v16
	v_lshlrev_b32_e32 v106, 3, v1
	v_mul_lo_u16 v1, 0xcd, v17
	v_add_nc_u32_e32 v105, v106, v0
	v_lshrrev_b16 v31, 11, v1
	v_add_nc_u32_e32 v18, 0x400, v105
	v_add_nc_u32_e32 v17, 0x800, v105
	;; [unrolled: 1-line block ×4, first 2 shown]
	v_mul_lo_u16 v33, v31, 10
	s_waitcnt vmcnt(11)
	v_mul_f32_e32 v0, v3, v82
	v_mul_f32_e32 v1, v2, v82
	s_waitcnt vmcnt(10)
	v_mul_f32_e32 v20, v4, v80
	v_fmac_f32_e32 v0, v2, v81
	v_mul_f32_e32 v2, v5, v80
	v_fma_f32 v1, v3, v81, -v1
	v_fma_f32 v3, v5, v79, -v20
	s_waitcnt vmcnt(9)
	v_mul_f32_e32 v5, v7, v68
	v_mul_f32_e32 v20, v6, v68
	v_fmac_f32_e32 v2, v4, v79
	s_waitcnt vmcnt(8)
	v_mul_f32_e32 v4, v8, v86
	v_mul_f32_e32 v27, v9, v86
	v_fmac_f32_e32 v5, v6, v67
	v_fma_f32 v6, v7, v67, -v20
	s_waitcnt vmcnt(7)
	v_mul_f32_e32 v7, v13, v84
	v_fma_f32 v28, v9, v85, -v4
	v_fmac_f32_e32 v27, v8, v85
	v_mul_f32_e32 v8, v12, v84
	s_waitcnt vmcnt(6)
	v_mul_f32_e32 v29, v15, v76
	v_mul_f32_e32 v4, v14, v76
	v_fmac_f32_e32 v7, v12, v83
	v_fma_f32 v8, v13, v83, -v8
	s_waitcnt vmcnt(5)
	v_mul_f32_e32 v12, v22, v78
	v_mul_f32_e32 v9, v21, v78
	v_fmac_f32_e32 v29, v14, v75
	v_fma_f32 v30, v15, v75, -v4
	;; [unrolled: 5-line block ×3, first 2 shown]
	s_waitcnt vmcnt(2)
	v_mul_f32_e32 v21, v10, v72
	v_mul_f32_e32 v20, v11, v72
	s_waitcnt vmcnt(0)
	v_mul_f32_e32 v9, v26, v74
	v_mul_f32_e32 v22, v25, v74
	v_fmac_f32_e32 v14, v23, v69
	v_fma_f32 v15, v24, v69, -v4
	v_fma_f32 v21, v11, v71, -v21
	v_fmac_f32_e32 v20, v10, v71
	v_fmac_f32_e32 v9, v25, v73
	v_fma_f32 v10, v26, v73, -v22
	ds_write2_b64 v105, v[0:1], v[2:3] offset1:90
	ds_write2_b64 v18, v[5:6], v[27:28] offset0:52 offset1:142
	ds_write2_b64 v17, v[7:8], v[29:30] offset0:104 offset1:194
	;; [unrolled: 1-line block ×4, first 2 shown]
	v_mul_lo_u16 v20, v16, 10
	v_sub_nc_u16 v21, v16, v33
	s_waitcnt lgkmcnt(0)
	s_barrier
	buffer_gl0_inv
	v_and_b32_e32 v20, 0xffff, v20
	ds_read2_b64 v[0:3], v105 offset1:90
	ds_read2_b64 v[4:7], v18 offset0:52 offset1:142
	ds_read2_b64 v[8:11], v17 offset0:104 offset1:194
	;; [unrolled: 1-line block ×3, first 2 shown]
	v_and_b32_e32 v33, 0xff, v21
	v_lshl_add_u32 v109, v20, 3, v106
	ds_read2_b64 v[20:23], v32 offset0:80 offset1:170
	v_mad_u64_u32 v[24:25], null, 0x48, v33, s[2:3]
	s_waitcnt lgkmcnt(0)
	s_barrier
	buffer_gl0_inv
	v_add_f32_e32 v34, v1, v5
	v_add_f32_e32 v35, v2, v6
	;; [unrolled: 1-line block ×5, first 2 shown]
	v_sub_f32_e32 v47, v7, v11
	v_sub_f32_e32 v48, v11, v7
	v_sub_f32_e32 v51, v7, v23
	v_add_f32_e32 v52, v6, v22
	v_add_f32_e32 v7, v7, v23
	;; [unrolled: 1-line block ×3, first 2 shown]
	v_sub_f32_e32 v28, v9, v13
	v_add_f32_e32 v37, v9, v13
	v_sub_f32_e32 v39, v5, v9
	v_sub_f32_e32 v40, v9, v5
	;; [unrolled: 1-line block ×7, first 2 shown]
	v_add_f32_e32 v5, v5, v21
	v_add_f32_e32 v9, v34, v9
	;; [unrolled: 1-line block ×4, first 2 shown]
	v_fma_f32 v34, -0.5, v45, v3
	v_fmac_f32_e32 v3, -0.5, v7
	v_fma_f32 v36, -0.5, v52, v2
	v_fma_f32 v2, -0.5, v41, v2
	v_add_f32_e32 v27, v8, v12
	v_sub_f32_e32 v6, v6, v22
	v_sub_f32_e32 v29, v4, v8
	;; [unrolled: 1-line block ×4, first 2 shown]
	v_add_f32_e32 v50, v4, v20
	v_sub_f32_e32 v53, v20, v12
	v_sub_f32_e32 v54, v12, v20
	;; [unrolled: 1-line block ×7, first 2 shown]
	v_add_f32_e32 v8, v26, v8
	v_fma_f32 v37, -0.5, v37, v1
	v_fma_f32 v45, -0.5, v5, v1
	v_add_f32_e32 v1, v9, v13
	v_add_f32_e32 v7, v10, v14
	v_fmamk_f32 v9, v42, 0xbf737871, v36
	v_fmac_f32_e32 v36, 0x3f737871, v42
	v_fmamk_f32 v10, v46, 0x3f737871, v3
	v_fmamk_f32 v13, v51, 0x3f737871, v2
	v_fma_f32 v27, -0.5, v27, v0
	v_fmac_f32_e32 v3, 0xbf737871, v46
	v_fmac_f32_e32 v2, 0xbf737871, v51
	v_sub_f32_e32 v59, v23, v15
	v_fmamk_f32 v14, v6, 0xbf737871, v34
	v_fmac_f32_e32 v34, 0x3f737871, v6
	v_sub_f32_e32 v4, v4, v20
	v_add_f32_e32 v26, v44, v58
	v_add_f32_e32 v35, v48, v60
	v_fma_f32 v44, -0.5, v50, v0
	v_add_f32_e32 v5, v29, v53
	v_add_f32_e32 v29, v30, v54
	v_add_f32_e32 v30, v43, v57
	v_add_f32_e32 v0, v8, v12
	v_add_f32_e32 v8, v11, v15
	v_fmac_f32_e32 v36, 0xbf167918, v51
	v_fmac_f32_e32 v13, 0x3f167918, v42
	;; [unrolled: 1-line block ×3, first 2 shown]
	v_fmamk_f32 v11, v49, 0x3f737871, v27
	v_fmac_f32_e32 v27, 0xbf737871, v49
	v_fmac_f32_e32 v3, 0x3f167918, v6
	;; [unrolled: 1-line block ×4, first 2 shown]
	v_add_f32_e32 v41, v47, v59
	v_fmac_f32_e32 v34, 0x3f167918, v46
	v_fmamk_f32 v12, v28, 0xbf737871, v44
	v_fmac_f32_e32 v44, 0x3f737871, v28
	v_fmamk_f32 v15, v4, 0xbf737871, v37
	v_fmamk_f32 v43, v38, 0x3f737871, v45
	v_fmac_f32_e32 v45, 0xbf737871, v38
	v_add_f32_e32 v20, v0, v20
	v_add_f32_e32 v21, v1, v21
	;; [unrolled: 1-line block ×4, first 2 shown]
	v_fmac_f32_e32 v14, 0xbf167918, v46
	v_fmac_f32_e32 v36, 0x3e9e377a, v26
	;; [unrolled: 1-line block ×11, first 2 shown]
	v_add_f32_e32 v39, v39, v55
	v_fmac_f32_e32 v12, 0x3f167918, v49
	v_fmac_f32_e32 v44, 0xbf167918, v49
	;; [unrolled: 1-line block ×5, first 2 shown]
	v_add_f32_e32 v0, v20, v7
	v_add_f32_e32 v1, v21, v8
	v_sub_f32_e32 v6, v20, v7
	v_sub_f32_e32 v7, v21, v8
	v_fmac_f32_e32 v14, 0x3e9e377a, v41
	v_mul_f32_e32 v4, 0x3e9e377a, v36
	v_mul_f32_e32 v8, 0x3f4f1bbd, v13
	;; [unrolled: 1-line block ×4, first 2 shown]
	v_add_f32_e32 v40, v40, v56
	v_fmac_f32_e32 v11, 0x3e9e377a, v5
	v_fmac_f32_e32 v27, 0x3e9e377a, v5
	v_mul_f32_e32 v5, 0x3e9e377a, v3
	v_mul_f32_e32 v21, 0x3f4f1bbd, v2
	;; [unrolled: 1-line block ×3, first 2 shown]
	v_fmac_f32_e32 v37, 0x3f167918, v38
	v_mul_f32_e32 v22, 0x3f4f1bbd, v34
	v_fmac_f32_e32 v12, 0x3e9e377a, v29
	v_fmac_f32_e32 v44, 0x3e9e377a, v29
	v_fmac_f32_e32 v15, 0x3e9e377a, v39
	v_fma_f32 v3, 0x3f737871, v3, -v4
	v_fmac_f32_e32 v8, 0x3f167918, v14
	v_fmac_f32_e32 v20, 0x3e9e377a, v9
	v_fmac_f32_e32 v13, 0x3f4f1bbd, v14
	v_fmac_f32_e32 v43, 0x3e9e377a, v40
	v_fmac_f32_e32 v45, 0x3e9e377a, v40
	v_fma_f32 v9, 0x3f167918, v34, -v21
	v_fmac_f32_e32 v23, 0x3e9e377a, v10
	v_fma_f32 v21, 0xbf737871, v36, -v5
	v_fmac_f32_e32 v37, 0x3e9e377a, v39
	v_fma_f32 v26, 0xbf167918, v2, -v22
	v_add_f32_e32 v2, v11, v8
	v_sub_f32_e32 v10, v12, v20
	v_add_f32_e32 v12, v12, v20
	v_add_f32_e32 v14, v44, v3
	v_sub_f32_e32 v20, v44, v3
	v_add_f32_e32 v3, v15, v13
	v_add_f32_e32 v4, v27, v9
	v_sub_f32_e32 v22, v27, v9
	v_sub_f32_e32 v9, v15, v13
	v_add_f32_e32 v13, v43, v23
	v_add_f32_e32 v15, v45, v21
	;; [unrolled: 1-line block ×3, first 2 shown]
	v_sub_f32_e32 v8, v11, v8
	v_sub_f32_e32 v11, v43, v23
	;; [unrolled: 1-line block ×4, first 2 shown]
	ds_write_b128 v109, v[0:3]
	ds_write_b128 v109, v[12:15] offset:16
	ds_write_b128 v109, v[4:7] offset:32
	;; [unrolled: 1-line block ×4, first 2 shown]
	s_waitcnt lgkmcnt(0)
	s_barrier
	buffer_gl0_inv
	s_clause 0x4
	global_load_dwordx4 v[4:7], v[24:25], off
	global_load_dwordx4 v[0:3], v[24:25], off offset:16
	global_load_dwordx4 v[8:11], v[24:25], off offset:32
	;; [unrolled: 1-line block ×3, first 2 shown]
	global_load_dwordx2 v[87:88], v[24:25], off offset:64
	v_mov_b32_e32 v28, 0x64
	ds_read2_b64 v[20:23], v18 offset0:52 offset1:142
	ds_read2_b64 v[24:27], v17 offset0:104 offset1:194
	v_mul_u32_u24_sdwa v34, v31, v28 dst_sel:DWORD dst_unused:UNUSED_PAD src0_sel:WORD_0 src1_sel:DWORD
	ds_read2_b64 v[28:31], v19 offset0:28 offset1:118
	v_add_nc_u32_e32 v36, v34, v33
	ds_read2_b64 v[32:35], v32 offset0:80 offset1:170
	v_lshl_add_u32 v110, v36, 3, v106
	ds_read2_b64 v[36:39], v105 offset1:90
	s_waitcnt vmcnt(0) lgkmcnt(0)
	s_barrier
	buffer_gl0_inv
	v_mul_f32_e32 v40, v21, v7
	v_mul_f32_e32 v41, v20, v7
	;; [unrolled: 1-line block ×17, first 2 shown]
	v_fma_f32 v20, v20, v6, -v40
	v_fmac_f32_e32 v41, v21, v6
	v_fma_f32 v21, v22, v0, -v42
	v_fmac_f32_e32 v43, v23, v0
	;; [unrolled: 2-line block ×4, first 2 shown]
	v_fma_f32 v24, v28, v10, -v48
	v_fma_f32 v25, v30, v12, -v50
	v_fmac_f32_e32 v51, v31, v12
	v_fma_f32 v26, v32, v14, -v52
	v_mul_f32_e32 v53, v32, v15
	v_fma_f32 v27, v34, v87, -v54
	v_fmac_f32_e32 v55, v35, v87
	v_fma_f32 v28, v38, v4, -v56
	v_fmac_f32_e32 v57, v39, v4
	v_fmac_f32_e32 v49, v29, v10
	v_add_f32_e32 v29, v22, v24
	v_sub_f32_e32 v35, v20, v22
	v_sub_f32_e32 v38, v26, v24
	v_add_f32_e32 v50, v23, v25
	v_add_f32_e32 v52, v47, v51
	v_fmac_f32_e32 v53, v33, v14
	v_add_f32_e32 v33, v36, v20
	v_sub_f32_e32 v42, v21, v23
	v_sub_f32_e32 v46, v43, v47
	;; [unrolled: 1-line block ×4, first 2 shown]
	v_add_f32_e32 v60, v28, v21
	v_add_f32_e32 v61, v57, v43
	v_sub_f32_e32 v94, v23, v21
	v_add_f32_e32 v21, v21, v27
	v_sub_f32_e32 v96, v47, v43
	v_add_f32_e32 v43, v43, v55
	v_add_f32_e32 v30, v20, v26
	;; [unrolled: 1-line block ×3, first 2 shown]
	v_sub_f32_e32 v44, v27, v25
	v_fma_f32 v98, -0.5, v29, v36
	v_add_f32_e32 v29, v35, v38
	v_fma_f32 v35, -0.5, v50, v28
	v_fma_f32 v38, -0.5, v52, v57
	v_add_f32_e32 v32, v41, v53
	v_sub_f32_e32 v39, v41, v45
	v_sub_f32_e32 v40, v53, v49
	;; [unrolled: 1-line block ×8, first 2 shown]
	v_add_f32_e32 v22, v33, v22
	v_add_f32_e32 v23, v60, v23
	v_fmac_f32_e32 v28, -0.5, v21
	v_fmac_f32_e32 v57, -0.5, v43
	v_add_f32_e32 v34, v37, v41
	v_sub_f32_e32 v48, v55, v51
	v_sub_f32_e32 v63, v45, v49
	v_fma_f32 v36, -0.5, v30, v36
	v_fma_f32 v99, -0.5, v31, v37
	v_add_f32_e32 v31, v42, v44
	v_fmamk_f32 v43, v54, 0xbf737871, v38
	v_fmamk_f32 v44, v58, 0x3f737871, v35
	v_sub_f32_e32 v62, v41, v53
	v_sub_f32_e32 v41, v45, v41
	;; [unrolled: 1-line block ×5, first 2 shown]
	v_fma_f32 v37, -0.5, v32, v37
	v_add_f32_e32 v30, v39, v40
	v_add_f32_e32 v39, v20, v92
	;; [unrolled: 1-line block ×4, first 2 shown]
	v_fmamk_f32 v24, v59, 0xbf737871, v28
	v_fmac_f32_e32 v28, 0x3f737871, v59
	v_fmamk_f32 v25, v56, 0x3f737871, v57
	v_fmac_f32_e32 v57, 0xbf737871, v56
	v_add_f32_e32 v33, v34, v45
	v_add_f32_e32 v34, v61, v47
	v_fmac_f32_e32 v35, 0xbf737871, v58
	v_fmac_f32_e32 v38, 0x3f737871, v54
	v_add_f32_e32 v32, v46, v48
	v_fmamk_f32 v45, v63, 0xbf737871, v36
	v_fmac_f32_e32 v36, 0x3f737871, v63
	v_fmac_f32_e32 v43, 0xbf167918, v56
	;; [unrolled: 1-line block ×3, first 2 shown]
	v_add_f32_e32 v40, v41, v93
	v_add_f32_e32 v41, v94, v95
	;; [unrolled: 1-line block ×3, first 2 shown]
	v_fmamk_f32 v46, v91, 0x3f737871, v37
	v_fmac_f32_e32 v37, 0xbf737871, v91
	v_fmac_f32_e32 v24, 0x3f167918, v58
	;; [unrolled: 1-line block ×5, first 2 shown]
	v_add_f32_e32 v21, v33, v49
	v_add_f32_e32 v23, v34, v51
	v_fmamk_f32 v33, v62, 0x3f737871, v98
	v_fmamk_f32 v34, v66, 0xbf737871, v99
	v_fmac_f32_e32 v98, 0xbf737871, v62
	v_fmac_f32_e32 v99, 0x3f737871, v66
	v_fmac_f32_e32 v35, 0xbf167918, v59
	v_fmac_f32_e32 v38, 0x3f167918, v56
	v_fmac_f32_e32 v45, 0x3f167918, v62
	v_fmac_f32_e32 v36, 0xbf167918, v62
	v_fmac_f32_e32 v43, 0x3e9e377a, v32
	v_fmac_f32_e32 v44, 0x3e9e377a, v31
	v_add_f32_e32 v26, v20, v26
	v_add_f32_e32 v22, v22, v27
	v_fmac_f32_e32 v46, 0xbf167918, v66
	v_fmac_f32_e32 v37, 0x3f167918, v66
	;; [unrolled: 1-line block ×14, first 2 shown]
	v_mul_f32_e32 v32, 0x3f167918, v43
	v_mul_f32_e32 v39, 0xbf167918, v44
	v_add_f32_e32 v20, v26, v22
	v_fmac_f32_e32 v46, 0x3e9e377a, v40
	v_fmac_f32_e32 v37, 0x3e9e377a, v40
	v_sub_f32_e32 v22, v26, v22
	v_mul_f32_e32 v40, 0x3f737871, v25
	v_mul_f32_e32 v41, 0xbf737871, v24
	;; [unrolled: 1-line block ×4, first 2 shown]
	v_fmac_f32_e32 v33, 0x3e9e377a, v29
	v_fmac_f32_e32 v34, 0x3e9e377a, v30
	;; [unrolled: 1-line block ×4, first 2 shown]
	v_mul_f32_e32 v29, 0x3f4f1bbd, v35
	v_mul_f32_e32 v30, 0x3f4f1bbd, v38
	v_add_f32_e32 v47, v21, v53
	v_add_f32_e32 v23, v23, v55
	v_fmac_f32_e32 v32, 0x3f4f1bbd, v44
	v_fmac_f32_e32 v39, 0x3f4f1bbd, v43
	;; [unrolled: 1-line block ×4, first 2 shown]
	v_fma_f32 v42, 0x3f737871, v57, -v26
	v_fma_f32 v43, 0xbf737871, v28, -v27
	;; [unrolled: 1-line block ×4, first 2 shown]
	v_add_f32_e32 v21, v47, v23
	v_add_f32_e32 v24, v33, v32
	;; [unrolled: 1-line block ×7, first 2 shown]
	v_sub_f32_e32 v23, v47, v23
	v_add_f32_e32 v30, v98, v38
	v_add_f32_e32 v31, v99, v44
	v_sub_f32_e32 v32, v33, v32
	v_sub_f32_e32 v33, v34, v39
	;; [unrolled: 1-line block ×8, first 2 shown]
	ds_write2_b64 v110, v[20:21], v[24:25] offset1:10
	ds_write2_b64 v110, v[26:27], v[28:29] offset0:20 offset1:30
	ds_write2_b64 v110, v[30:31], v[22:23] offset0:40 offset1:50
	;; [unrolled: 1-line block ×4, first 2 shown]
	s_waitcnt lgkmcnt(0)
	s_barrier
	buffer_gl0_inv
	ds_read_b64 v[48:49], v105 offset:6240
	ds_read2_b64 v[20:23], v18 offset0:52 offset1:172
	ds_read2_b64 v[44:47], v19 offset0:88 offset1:178
	ds_read2_b64 v[40:43], v17 offset0:134 offset1:224
	ds_read2_b64 v[36:39], v105 offset1:90
	v_mov_b32_e32 v66, s0
                                        ; implicit-def: $vgpr50
                                        ; implicit-def: $vgpr52
	s_and_saveexec_b32 s0, vcc_lo
	s_cbranch_execz .LBB0_3
; %bb.2:
	ds_read_b64 v[91:92], v105 offset:2160
	ds_read_b64 v[50:51], v105 offset:4560
	;; [unrolled: 1-line block ×3, first 2 shown]
.LBB0_3:
	s_or_b32 exec_lo, exec_lo, s0
	v_add_co_u32 v93, s0, 0x5a, v65
	v_add_co_ci_u32_e64 v94, null, 0, 0, s0
	v_add_co_u32 v18, s0, v65, -10
	v_add_co_ci_u32_e64 v19, null, 0, -1, s0
	v_cmp_gt_u16_e64 s0, 10, v65
	v_lshlrev_b64 v[16:17], 4, v[65:66]
	v_mov_b32_e32 v27, 0x147b
	v_cndmask_b32_e64 v55, v19, v94, s0
	v_cndmask_b32_e64 v54, v18, v93, s0
	v_add_co_u32 v97, s0, s2, v16
	v_add_co_ci_u32_e64 v98, s0, s3, v17, s0
	v_lshlrev_b64 v[24:25], 4, v[54:55]
	v_add_co_u32 v95, s0, 0xb4, v65
	v_add_co_ci_u32_e64 v96, null, 0, 0, s0
	global_load_dwordx4 v[16:19], v[97:98], off offset:720
	v_add_co_u32 v24, s0, s2, v24
	v_add_co_ci_u32_e64 v25, s0, s3, v25, s0
	v_add_co_u32 v113, s0, 0x10e, v65
	v_lshrrev_b16 v26, 2, v95
	global_load_dwordx4 v[28:31], v[24:25], off offset:720
	v_add_co_ci_u32_e64 v114, null, 0, 0, s0
	v_lshrrev_b16 v32, 2, v113
	v_mul_u32_u24_sdwa v24, v26, v27 dst_sel:DWORD dst_unused:UNUSED_PAD src0_sel:WORD_0 src1_sel:DWORD
	v_mul_u32_u24_sdwa v25, v32, v27 dst_sel:DWORD dst_unused:UNUSED_PAD src0_sel:WORD_0 src1_sel:DWORD
	v_lshrrev_b32_e32 v55, 17, v24
	v_lshrrev_b32_e32 v24, 17, v25
	v_mul_lo_u16 v25, 0x64, v55
	v_mul_lo_u16 v24, 0x64, v24
	v_sub_nc_u16 v56, v95, v25
	v_sub_nc_u16 v57, v113, v24
	v_lshlrev_b16 v24, 4, v56
	v_mad_u16 v55, 0x12c, v55, v56
	v_lshlrev_b16 v25, 4, v57
	v_and_b32_e32 v24, 0xffff, v24
	v_and_b32_e32 v55, 0xffff, v55
	;; [unrolled: 1-line block ×4, first 2 shown]
	v_add_co_u32 v24, s0, s2, v24
	v_add_co_ci_u32_e64 v25, null, s3, 0, s0
	v_add_co_u32 v26, s0, s2, v26
	v_add_co_ci_u32_e64 v27, null, s3, 0, s0
	s_clause 0x1
	global_load_dwordx4 v[32:35], v[24:25], off offset:720
	global_load_dwordx4 v[24:27], v[26:27], off offset:720
	v_cmp_lt_u16_e64 s0, 9, v65
	v_lshl_add_u32 v112, v55, 3, v106
	s_waitcnt vmcnt(0) lgkmcnt(0)
	s_barrier
	buffer_gl0_inv
	v_cndmask_b32_e64 v58, 0, 0x12c, s0
	v_add_nc_u32_e32 v54, v54, v58
	v_lshl_add_u32 v111, v54, 3, v106
	v_mul_f32_e32 v54, v23, v17
	v_mul_f32_e32 v55, v22, v17
	;; [unrolled: 1-line block ×4, first 2 shown]
	v_fma_f32 v22, v22, v16, -v54
	v_fmac_f32_e32 v55, v23, v16
	v_fma_f32 v44, v44, v18, -v56
	v_fmac_f32_e32 v57, v45, v18
	v_mul_f32_e32 v23, v41, v29
	v_mul_f32_e32 v54, v47, v31
	;; [unrolled: 1-line block ×4, first 2 shown]
	v_add_f32_e32 v59, v22, v44
	v_sub_f32_e32 v60, v55, v57
	v_add_f32_e32 v61, v37, v55
	v_add_f32_e32 v55, v55, v57
	v_fma_f32 v63, v40, v28, -v23
	v_fma_f32 v46, v46, v30, -v54
	v_add_f32_e32 v58, v36, v22
	v_sub_f32_e32 v62, v22, v44
	v_fmac_f32_e32 v45, v41, v28
	v_fma_f32 v22, -0.5, v59, v36
	v_fmac_f32_e32 v56, v47, v30
	v_fma_f32 v23, -0.5, v55, v37
	v_add_f32_e32 v47, v63, v46
	v_add_f32_e32 v36, v58, v44
	;; [unrolled: 1-line block ×3, first 2 shown]
	v_fmamk_f32 v40, v60, 0x3f5db3d7, v22
	v_fmamk_f32 v41, v62, 0xbf5db3d7, v23
	v_add_f32_e32 v44, v38, v63
	v_sub_f32_e32 v54, v45, v56
	v_add_f32_e32 v55, v39, v45
	v_fma_f32 v38, -0.5, v47, v38
	v_fmac_f32_e32 v22, 0xbf5db3d7, v60
	v_fmac_f32_e32 v23, 0x3f5db3d7, v62
	v_add_f32_e32 v57, v45, v56
	v_sub_f32_e32 v58, v63, v46
	v_add_f32_e32 v44, v44, v46
	v_add_f32_e32 v45, v55, v56
	ds_write2_b64 v105, v[36:37], v[40:41] offset1:100
	ds_write_b64 v105, v[22:23] offset:1600
	v_fmamk_f32 v22, v54, 0x3f5db3d7, v38
	v_fmac_f32_e32 v38, 0xbf5db3d7, v54
	v_fmac_f32_e32 v39, -0.5, v57
	v_fmamk_f32 v23, v58, 0xbf5db3d7, v39
	v_fmac_f32_e32 v39, 0x3f5db3d7, v58
	v_mul_f32_e32 v36, v43, v33
	v_mul_f32_e32 v37, v42, v33
	;; [unrolled: 1-line block ×8, first 2 shown]
	v_fma_f32 v36, v42, v32, -v36
	v_fmac_f32_e32 v37, v43, v32
	v_fma_f32 v42, v50, v24, -v46
	v_fmac_f32_e32 v47, v51, v24
	;; [unrolled: 2-line block ×4, first 2 shown]
	v_add_f32_e32 v57, v92, v47
	v_add_f32_e32 v54, v42, v43
	v_sub_f32_e32 v56, v47, v55
	v_add_f32_e32 v47, v47, v55
	v_add_f32_e32 v48, v36, v40
	;; [unrolled: 1-line block ×4, first 2 shown]
	v_sub_f32_e32 v42, v42, v43
	v_fmac_f32_e32 v91, -0.5, v54
	v_fmac_f32_e32 v92, -0.5, v47
	v_add_f32_e32 v46, v20, v36
	v_sub_f32_e32 v49, v37, v41
	v_add_f32_e32 v50, v21, v37
	v_sub_f32_e32 v52, v36, v40
	v_fma_f32 v20, -0.5, v48, v20
	v_fmac_f32_e32 v21, -0.5, v51
	v_add_f32_e32 v99, v53, v43
	v_add_f32_e32 v100, v57, v55
	v_fmamk_f32 v101, v56, 0x3f5db3d7, v91
	v_fmac_f32_e32 v91, 0xbf5db3d7, v56
	v_fmamk_f32 v102, v42, 0xbf5db3d7, v92
	v_fmac_f32_e32 v92, 0x3f5db3d7, v42
	v_add_f32_e32 v36, v46, v40
	v_add_f32_e32 v37, v50, v41
	v_fmamk_f32 v40, v49, 0x3f5db3d7, v20
	v_fmamk_f32 v41, v52, 0xbf5db3d7, v21
	v_fmac_f32_e32 v20, 0xbf5db3d7, v49
	v_fmac_f32_e32 v21, 0x3f5db3d7, v52
	ds_write2_b64 v111, v[44:45], v[22:23] offset1:100
	ds_write_b64 v111, v[38:39] offset:1600
	ds_write2_b64 v112, v[36:37], v[40:41] offset1:100
	ds_write_b64 v112, v[20:21] offset:1600
	s_and_saveexec_b32 s0, vcc_lo
	s_cbranch_execz .LBB0_5
; %bb.4:
	v_lshl_add_u32 v20, v66, 3, v106
	v_add_nc_u32_e32 v21, 0x1000, v20
	ds_write2_b64 v21, v[99:100], v[101:102] offset0:88 offset1:188
	ds_write_b64 v20, v[91:92] offset:6400
.LBB0_5:
	s_or_b32 exec_lo, exec_lo, s0
	v_add_nc_u32_e32 v20, 0x400, v105
	v_add_nc_u32_e32 v21, 0x1000, v105
	;; [unrolled: 1-line block ×3, first 2 shown]
	s_waitcnt lgkmcnt(0)
	s_barrier
	buffer_gl0_inv
	ds_read2_b64 v[52:55], v105 offset1:90
	ds_read2_b64 v[48:51], v20 offset0:52 offset1:172
	ds_read2_b64 v[60:63], v21 offset0:88 offset1:178
	;; [unrolled: 1-line block ×3, first 2 shown]
	ds_read_b64 v[103:104], v105 offset:6240
	s_and_saveexec_b32 s0, vcc_lo
	s_cbranch_execz .LBB0_7
; %bb.6:
	ds_read_b64 v[99:100], v105 offset:2160
	ds_read_b64 v[101:102], v105 offset:4560
	;; [unrolled: 1-line block ×3, first 2 shown]
.LBB0_7:
	s_or_b32 exec_lo, exec_lo, s0
	v_lshlrev_b64 v[20:21], 4, v[93:94]
	v_lshlrev_b64 v[40:41], 4, v[95:96]
	v_add_co_u32 v22, s0, s2, v20
	v_add_co_ci_u32_e64 v23, s0, s3, v21, s0
	v_add_co_u32 v20, s0, 0x800, v97
	v_add_co_ci_u32_e64 v21, s0, 0, v98, s0
	;; [unrolled: 2-line block ×3, first 2 shown]
	s_clause 0x1
	global_load_dwordx4 v[44:47], v[20:21], off offset:272
	global_load_dwordx4 v[36:39], v[22:23], off offset:272
	v_add_co_u32 v20, s0, s2, v40
	v_add_co_ci_u32_e64 v21, s0, s3, v41, s0
	v_add_co_u32 v22, s0, 0xffffffe2, v65
	v_add_co_ci_u32_e64 v23, null, 0, -1, s0
	v_add_co_u32 v20, s0, 0x800, v20
	v_add_co_ci_u32_e64 v21, s0, 0, v21, s0
	v_cndmask_b32_e32 v23, v23, v114, vcc_lo
	v_cndmask_b32_e32 v22, v22, v113, vcc_lo
	global_load_dwordx4 v[40:43], v[20:21], off offset:272
	v_lshlrev_b64 v[20:21], 4, v[22:23]
	v_add_co_u32 v20, s0, s2, v20
	v_add_co_ci_u32_e64 v21, s0, s3, v21, s0
	v_add_co_u32 v20, s0, 0x800, v20
	v_add_co_ci_u32_e64 v21, s0, 0, v21, s0
	global_load_dwordx4 v[20:23], v[20:21], off offset:272
	s_waitcnt vmcnt(3) lgkmcnt(3)
	v_mul_f32_e32 v93, v51, v45
	v_mul_f32_e32 v94, v50, v45
	s_waitcnt lgkmcnt(2)
	v_mul_f32_e32 v95, v61, v47
	v_mul_f32_e32 v96, v60, v47
	s_waitcnt vmcnt(2) lgkmcnt(1)
	v_mul_f32_e32 v115, v57, v37
	v_fma_f32 v50, v50, v44, -v93
	v_fmac_f32_e32 v94, v51, v44
	v_fma_f32 v51, v60, v46, -v95
	v_fmac_f32_e32 v96, v61, v46
	v_mul_f32_e32 v116, v56, v37
	v_add_f32_e32 v61, v52, v50
	v_mul_f32_e32 v117, v63, v39
	v_add_f32_e32 v95, v50, v51
	v_add_f32_e32 v113, v94, v96
	v_mul_f32_e32 v118, v62, v39
	v_sub_f32_e32 v97, v94, v96
	v_add_f32_e32 v98, v53, v94
	s_waitcnt vmcnt(1)
	v_mul_f32_e32 v119, v59, v41
	v_mul_f32_e32 v120, v58, v41
	s_waitcnt lgkmcnt(0)
	v_mul_f32_e32 v121, v104, v43
	v_sub_f32_e32 v114, v50, v51
	v_add_f32_e32 v93, v61, v51
	v_fma_f32 v50, -0.5, v95, v52
	v_fma_f32 v51, -0.5, v113, v53
	v_fma_f32 v61, v56, v36, -v115
	v_fmac_f32_e32 v116, v57, v36
	v_fma_f32 v62, v62, v38, -v117
	v_fmac_f32_e32 v118, v63, v38
	;; [unrolled: 2-line block ×3, first 2 shown]
	v_fma_f32 v63, v103, v42, -v121
	v_mul_f32_e32 v122, v103, v43
	v_lshl_add_u32 v60, v65, 3, v106
	v_add_f32_e32 v94, v98, v96
	v_fmamk_f32 v52, v97, 0x3f5db3d7, v50
	v_fmac_f32_e32 v50, 0xbf5db3d7, v97
	v_fmamk_f32 v53, v114, 0xbf5db3d7, v51
	v_fmac_f32_e32 v51, 0x3f5db3d7, v114
	s_waitcnt vmcnt(0)
	v_mul_f32_e32 v59, v102, v21
	v_mul_f32_e32 v57, v101, v21
	;; [unrolled: 1-line block ×4, first 2 shown]
	v_add_f32_e32 v96, v54, v61
	v_add_f32_e32 v97, v61, v62
	v_sub_f32_e32 v113, v61, v62
	v_add_f32_e32 v61, v48, v58
	v_add_f32_e32 v114, v58, v63
	v_sub_f32_e32 v119, v58, v63
	v_fma_f32 v58, v101, v20, -v59
	v_fmac_f32_e32 v57, v102, v20
	v_fma_f32 v59, v91, v22, -v95
	v_fmac_f32_e32 v56, v92, v22
	v_fmac_f32_e32 v122, v104, v42
	v_add_f32_e32 v103, v55, v116
	v_add_f32_e32 v104, v116, v118
	ds_write_b64 v60, v[52:53] offset:2400
	ds_write_b64 v60, v[50:51] offset:4800
	v_add_f32_e32 v50, v58, v59
	v_add_f32_e32 v51, v57, v56
	;; [unrolled: 1-line block ×3, first 2 shown]
	v_sub_f32_e32 v98, v116, v118
	v_add_f32_e32 v52, v96, v62
	v_fma_f32 v54, -0.5, v97, v54
	v_add_f32_e32 v53, v103, v118
	v_fmac_f32_e32 v55, -0.5, v104
	v_add_f32_e32 v61, v61, v63
	v_sub_f32_e32 v63, v57, v56
	v_fma_f32 v50, -0.5, v50, v99
	v_sub_f32_e32 v97, v58, v59
	v_fma_f32 v51, -0.5, v51, v100
	v_add_f32_e32 v116, v49, v120
	v_sub_f32_e32 v115, v120, v122
	v_fma_f32 v48, -0.5, v114, v48
	v_fmac_f32_e32 v49, -0.5, v117
	v_fmamk_f32 v91, v98, 0x3f5db3d7, v54
	v_fmamk_f32 v92, v113, 0xbf5db3d7, v55
	ds_write2_b64 v105, v[93:94], v[52:53] offset1:90
	v_fmamk_f32 v52, v63, 0x3f5db3d7, v50
	v_fmac_f32_e32 v50, 0xbf5db3d7, v63
	v_fmamk_f32 v53, v97, 0xbf5db3d7, v51
	v_fmac_f32_e32 v51, 0x3f5db3d7, v97
	v_fmac_f32_e32 v54, 0xbf5db3d7, v98
	;; [unrolled: 1-line block ×3, first 2 shown]
	v_add_f32_e32 v62, v116, v122
	v_fmamk_f32 v95, v115, 0x3f5db3d7, v48
	v_fmamk_f32 v96, v119, 0xbf5db3d7, v49
	v_fmac_f32_e32 v48, 0xbf5db3d7, v115
	v_fmac_f32_e32 v49, 0x3f5db3d7, v119
	ds_write_b64 v60, v[91:92] offset:3120
	ds_write_b64 v60, v[54:55] offset:5520
	ds_write_b64 v105, v[61:62] offset:1440
	ds_write_b64 v105, v[95:96] offset:3840
	ds_write_b64 v105, v[48:49] offset:6240
	s_and_saveexec_b32 s0, vcc_lo
	s_cbranch_execz .LBB0_9
; %bb.8:
	v_add_f32_e32 v48, v100, v57
	v_add_f32_e32 v54, v99, v58
	;; [unrolled: 1-line block ×4, first 2 shown]
	ds_write_b64 v105, v[48:49] offset:2160
	ds_write_b64 v60, v[52:53] offset:4560
	;; [unrolled: 1-line block ×3, first 2 shown]
.LBB0_9:
	s_or_b32 exec_lo, exec_lo, s0
	v_add_co_u32 v48, s0, 0x1c20, v107
	v_add_co_ci_u32_e64 v49, s0, 0, v108, s0
	v_add_co_u32 v54, s0, 0x2000, v107
	s_waitcnt lgkmcnt(0)
	s_barrier
	buffer_gl0_inv
	global_load_dwordx2 v[57:58], v[89:90], off offset:1056
	v_add_co_ci_u32_e64 v55, s0, 0, v108, s0
	v_add_co_u32 v61, s0, 0x2800, v107
	v_add_co_ci_u32_e64 v62, s0, 0, v108, s0
	s_clause 0x4
	global_load_dwordx2 v[117:118], v[48:49], off offset:720
	global_load_dwordx2 v[48:49], v[48:49], off offset:1440
	;; [unrolled: 1-line block ×5, first 2 shown]
	v_add_co_u32 v54, s0, 0x3000, v107
	v_add_co_ci_u32_e64 v55, s0, 0, v108, s0
	s_clause 0x3
	global_load_dwordx2 v[107:108], v[61:62], off offset:1280
	global_load_dwordx2 v[61:62], v[61:62], off offset:2000
	;; [unrolled: 1-line block ×4, first 2 shown]
	ds_read2_b64 v[89:92], v105 offset1:90
	v_add_nc_u32_e32 v55, 0x400, v105
	v_add_nc_u32_e32 v54, 0x800, v105
	;; [unrolled: 1-line block ×4, first 2 shown]
	ds_read2_b64 v[93:96], v55 offset0:52 offset1:142
	ds_read2_b64 v[97:100], v54 offset0:104 offset1:194
	;; [unrolled: 1-line block ×4, first 2 shown]
	s_waitcnt vmcnt(9) lgkmcnt(4)
	v_mul_f32_e32 v63, v90, v58
	v_mul_f32_e32 v59, v89, v58
	v_fma_f32 v58, v89, v57, -v63
	v_fmac_f32_e32 v59, v90, v57
	s_waitcnt vmcnt(8)
	v_mul_f32_e32 v57, v92, v118
	v_mul_f32_e32 v63, v91, v118
	s_waitcnt vmcnt(7) lgkmcnt(3)
	v_mul_f32_e32 v89, v94, v49
	v_mul_f32_e32 v90, v93, v49
	s_waitcnt vmcnt(6)
	v_mul_f32_e32 v130, v96, v120
	v_mul_f32_e32 v49, v95, v120
	s_waitcnt vmcnt(5) lgkmcnt(2)
	v_mul_f32_e32 v131, v98, v122
	v_mul_f32_e32 v118, v97, v122
	;; [unrolled: 6-line block ×4, first 2 shown]
	s_waitcnt vmcnt(0)
	v_mul_f32_e32 v136, v116, v128
	v_mul_f32_e32 v126, v115, v128
	v_fma_f32 v62, v91, v117, -v57
	v_fmac_f32_e32 v63, v92, v117
	v_fma_f32 v89, v93, v48, -v89
	v_fmac_f32_e32 v90, v94, v48
	;; [unrolled: 2-line block ×9, first 2 shown]
	ds_write2_b64 v105, v[58:59], v[62:63] offset1:90
	ds_write2_b64 v55, v[89:90], v[48:49] offset0:52 offset1:142
	ds_write2_b64 v54, v[117:118], v[119:120] offset0:104 offset1:194
	ds_write2_b64 v56, v[121:122], v[107:108] offset0:28 offset1:118
	ds_write2_b64 v129, v[123:124], v[125:126] offset0:80 offset1:170
	s_waitcnt lgkmcnt(0)
	s_barrier
	buffer_gl0_inv
	ds_read2_b64 v[89:92], v105 offset1:90
	ds_read2_b64 v[93:96], v55 offset0:52 offset1:142
	ds_read2_b64 v[97:100], v54 offset0:104 offset1:194
	;; [unrolled: 1-line block ×4, first 2 shown]
	s_waitcnt lgkmcnt(0)
	s_barrier
	buffer_gl0_inv
	v_add_f32_e32 v48, v89, v93
	v_sub_f32_e32 v59, v93, v97
	v_sub_f32_e32 v63, v97, v93
	v_sub_f32_e32 v57, v94, v114
	v_sub_f32_e32 v61, v113, v101
	v_add_f32_e32 v62, v93, v113
	v_sub_f32_e32 v107, v101, v113
	v_add_f32_e32 v108, v90, v94
	v_add_f32_e32 v117, v98, v102
	v_sub_f32_e32 v119, v94, v98
	v_add_f32_e32 v121, v94, v114
	v_sub_f32_e32 v94, v98, v94
	v_sub_f32_e32 v122, v102, v114
	v_add_f32_e32 v123, v91, v95
	v_add_f32_e32 v124, v99, v103
	v_add_f32_e32 v133, v92, v96
	v_add_f32_e32 v134, v100, v104
	v_add_f32_e32 v138, v96, v116
	v_add_f32_e32 v49, v97, v101
	v_sub_f32_e32 v118, v97, v101
	v_sub_f32_e32 v125, v96, v116
	;; [unrolled: 1-line block ×4, first 2 shown]
	v_add_f32_e32 v130, v95, v115
	v_sub_f32_e32 v131, v99, v95
	v_sub_f32_e32 v95, v95, v115
	;; [unrolled: 1-line block ×4, first 2 shown]
	v_add_f32_e32 v48, v48, v97
	v_add_f32_e32 v59, v59, v61
	v_fma_f32 v61, -0.5, v62, v89
	v_add_f32_e32 v62, v63, v107
	v_add_f32_e32 v63, v108, v98
	v_fma_f32 v107, -0.5, v117, v90
	v_fma_f32 v108, -0.5, v121, v90
	v_add_f32_e32 v90, v94, v122
	v_add_f32_e32 v94, v123, v99
	v_fma_f32 v97, -0.5, v124, v91
	v_add_f32_e32 v100, v133, v100
	v_fma_f32 v117, -0.5, v134, v92
	v_sub_f32_e32 v135, v99, v103
	v_fmac_f32_e32 v92, -0.5, v138
	v_sub_f32_e32 v58, v98, v102
	v_sub_f32_e32 v93, v93, v113
	;; [unrolled: 1-line block ×7, first 2 shown]
	v_fma_f32 v49, -0.5, v49, v89
	v_add_f32_e32 v94, v94, v103
	v_fmamk_f32 v103, v125, 0xbf737871, v97
	v_add_f32_e32 v100, v100, v104
	v_fmamk_f32 v104, v95, 0x3f737871, v117
	v_fma_f32 v91, -0.5, v130, v91
	v_fmamk_f32 v123, v135, 0xbf737871, v92
	v_fmac_f32_e32 v92, 0x3f737871, v135
	v_fmac_f32_e32 v117, 0xbf737871, v95
	v_add_f32_e32 v89, v119, v120
	v_add_f32_e32 v98, v127, v128
	v_add_f32_e32 v119, v136, v137
	v_add_f32_e32 v48, v48, v101
	v_fmamk_f32 v101, v57, 0xbf737871, v49
	v_fmac_f32_e32 v49, 0x3f737871, v57
	v_fmamk_f32 v120, v58, 0x3f737871, v61
	v_fmac_f32_e32 v61, 0xbf737871, v58
	v_add_f32_e32 v63, v63, v102
	v_fmamk_f32 v102, v93, 0x3f737871, v107
	v_fmac_f32_e32 v107, 0xbf737871, v93
	v_fmac_f32_e32 v103, 0xbf167918, v126
	;; [unrolled: 1-line block ×3, first 2 shown]
	v_add_f32_e32 v96, v96, v139
	v_fmamk_f32 v121, v118, 0xbf737871, v108
	v_fmac_f32_e32 v108, 0x3f737871, v118
	v_fmamk_f32 v122, v126, 0x3f737871, v91
	v_fmac_f32_e32 v91, 0xbf737871, v126
	v_fmac_f32_e32 v123, 0x3f167918, v95
	;; [unrolled: 1-line block ×5, first 2 shown]
	v_add_f32_e32 v48, v48, v113
	v_fmac_f32_e32 v101, 0xbf167918, v58
	v_fmac_f32_e32 v49, 0x3f167918, v58
	;; [unrolled: 1-line block ×6, first 2 shown]
	v_add_f32_e32 v58, v94, v115
	v_fmac_f32_e32 v103, 0x3e9e377a, v98
	v_fmac_f32_e32 v104, 0x3e9e377a, v119
	v_add_f32_e32 v99, v131, v132
	v_add_f32_e32 v57, v63, v114
	v_fmac_f32_e32 v121, 0x3f167918, v93
	v_fmac_f32_e32 v108, 0xbf167918, v93
	;; [unrolled: 1-line block ×4, first 2 shown]
	v_add_f32_e32 v63, v100, v116
	v_fmac_f32_e32 v123, 0x3e9e377a, v96
	v_fmac_f32_e32 v92, 0x3e9e377a, v96
	;; [unrolled: 1-line block ×8, first 2 shown]
	v_add_f32_e32 v89, v48, v58
	v_sub_f32_e32 v95, v48, v58
	v_mul_f32_e32 v48, 0xbf167918, v104
	v_mul_f32_e32 v62, 0x3f167918, v103
	v_fmac_f32_e32 v121, 0x3e9e377a, v90
	v_fmac_f32_e32 v108, 0x3e9e377a, v90
	;; [unrolled: 1-line block ×4, first 2 shown]
	v_add_f32_e32 v90, v57, v63
	v_sub_f32_e32 v96, v57, v63
	v_mul_f32_e32 v57, 0xbf737871, v123
	v_mul_f32_e32 v58, 0xbf737871, v92
	;; [unrolled: 1-line block ×4, first 2 shown]
	v_fmac_f32_e32 v101, 0x3e9e377a, v59
	v_fmac_f32_e32 v49, 0x3e9e377a, v59
	;; [unrolled: 1-line block ×3, first 2 shown]
	v_mul_f32_e32 v59, 0xbf167918, v117
	v_mul_f32_e32 v116, 0xbf4f1bbd, v117
	v_fmac_f32_e32 v48, 0x3f4f1bbd, v103
	v_fmac_f32_e32 v62, 0x3f4f1bbd, v104
	;; [unrolled: 1-line block ×8, first 2 shown]
	v_add_f32_e32 v91, v101, v48
	v_add_f32_e32 v92, v102, v62
	;; [unrolled: 1-line block ×8, first 2 shown]
	v_sub_f32_e32 v101, v101, v48
	v_sub_f32_e32 v103, v120, v57
	;; [unrolled: 1-line block ×8, first 2 shown]
	ds_write_b128 v109, v[89:92]
	ds_write_b128 v109, v[97:100] offset:16
	ds_write_b128 v109, v[93:96] offset:32
	;; [unrolled: 1-line block ×4, first 2 shown]
	s_waitcnt lgkmcnt(0)
	s_barrier
	buffer_gl0_inv
	ds_read2_b64 v[89:92], v105 offset1:90
	ds_read2_b64 v[93:96], v55 offset0:52 offset1:142
	ds_read2_b64 v[97:100], v54 offset0:104 offset1:194
	;; [unrolled: 1-line block ×4, first 2 shown]
	s_waitcnt lgkmcnt(0)
	s_barrier
	buffer_gl0_inv
	v_mul_f32_e32 v48, v5, v92
	v_mul_f32_e32 v5, v5, v91
	;; [unrolled: 1-line block ×18, first 2 shown]
	v_fmac_f32_e32 v48, v4, v91
	v_fma_f32 v4, v4, v92, -v5
	v_fmac_f32_e32 v49, v6, v93
	v_fma_f32 v5, v6, v94, -v7
	;; [unrolled: 2-line block ×4, first 2 shown]
	v_fma_f32 v2, v8, v100, -v9
	v_fmac_f32_e32 v61, v10, v101
	v_fma_f32 v3, v10, v102, -v11
	v_fma_f32 v6, v12, v104, -v13
	v_fmac_f32_e32 v63, v14, v113
	v_fmac_f32_e32 v59, v8, v99
	v_fma_f32 v8, v87, v116, -v88
	v_fmac_f32_e32 v62, v12, v103
	v_fma_f32 v7, v14, v114, -v15
	v_fmac_f32_e32 v107, v87, v115
	v_add_f32_e32 v9, v89, v49
	v_add_f32_e32 v10, v58, v61
	v_sub_f32_e32 v13, v49, v58
	v_sub_f32_e32 v14, v63, v61
	;; [unrolled: 1-line block ×4, first 2 shown]
	v_add_f32_e32 v92, v1, v3
	v_add_f32_e32 v113, v4, v0
	;; [unrolled: 1-line block ×6, first 2 shown]
	v_sub_f32_e32 v93, v58, v61
	v_add_f32_e32 v98, v48, v57
	v_add_f32_e32 v99, v59, v62
	v_sub_f32_e32 v100, v0, v8
	v_sub_f32_e32 v101, v2, v6
	;; [unrolled: 1-line block ×3, first 2 shown]
	v_add_f32_e32 v104, v57, v107
	v_sub_f32_e32 v108, v59, v57
	v_sub_f32_e32 v57, v57, v107
	;; [unrolled: 1-line block ×4, first 2 shown]
	v_add_f32_e32 v9, v9, v58
	v_fma_f32 v58, -0.5, v10, v89
	v_add_f32_e32 v10, v13, v14
	v_add_f32_e32 v14, v87, v88
	v_fma_f32 v87, -0.5, v92, v90
	v_add_f32_e32 v2, v113, v2
	v_fma_f32 v92, -0.5, v114, v4
	v_sub_f32_e32 v115, v59, v62
	v_fmac_f32_e32 v4, -0.5, v118
	v_sub_f32_e32 v11, v5, v7
	v_sub_f32_e32 v12, v1, v3
	;; [unrolled: 1-line block ×4, first 2 shown]
	v_add_f32_e32 v96, v5, v7
	v_sub_f32_e32 v5, v1, v5
	v_sub_f32_e32 v117, v8, v6
	;; [unrolled: 1-line block ×3, first 2 shown]
	v_fma_f32 v13, -0.5, v15, v89
	v_add_f32_e32 v1, v91, v1
	v_add_f32_e32 v59, v98, v59
	v_fma_f32 v89, -0.5, v99, v48
	v_add_f32_e32 v2, v2, v6
	v_fmamk_f32 v6, v57, 0x3f737871, v92
	v_sub_f32_e32 v49, v49, v63
	v_fmac_f32_e32 v48, -0.5, v104
	v_fmamk_f32 v98, v115, 0xbf737871, v4
	v_fmac_f32_e32 v4, 0x3f737871, v115
	v_fmac_f32_e32 v92, 0xbf737871, v57
	v_sub_f32_e32 v97, v3, v7
	v_sub_f32_e32 v103, v107, v62
	v_add_f32_e32 v15, v94, v95
	v_add_f32_e32 v94, v116, v117
	;; [unrolled: 1-line block ×4, first 2 shown]
	v_fmamk_f32 v59, v100, 0xbf737871, v89
	v_fmac_f32_e32 v6, 0x3f167918, v115
	v_sub_f32_e32 v109, v62, v107
	v_fma_f32 v88, -0.5, v96, v90
	v_add_f32_e32 v0, v0, v119
	v_fmamk_f32 v95, v12, 0x3f737871, v13
	v_fmac_f32_e32 v13, 0xbf737871, v12
	v_fmamk_f32 v96, v49, 0x3f737871, v87
	v_fmac_f32_e32 v87, 0xbf737871, v49
	v_fmac_f32_e32 v89, 0x3f737871, v100
	v_fmamk_f32 v62, v101, 0x3f737871, v48
	v_fmac_f32_e32 v48, 0xbf737871, v101
	v_fmac_f32_e32 v98, 0x3f167918, v57
	;; [unrolled: 1-line block ×4, first 2 shown]
	v_add_f32_e32 v90, v102, v103
	v_add_f32_e32 v9, v9, v61
	v_fmamk_f32 v61, v11, 0xbf737871, v58
	v_fmac_f32_e32 v58, 0x3f737871, v11
	v_fmac_f32_e32 v59, 0xbf167918, v101
	;; [unrolled: 1-line block ×3, first 2 shown]
	v_add_f32_e32 v5, v5, v97
	v_add_f32_e32 v91, v108, v109
	v_fmamk_f32 v97, v93, 0xbf737871, v88
	v_fmac_f32_e32 v88, 0x3f737871, v93
	v_fmac_f32_e32 v95, 0xbf167918, v11
	;; [unrolled: 1-line block ×11, first 2 shown]
	v_add_f32_e32 v9, v9, v63
	v_fmac_f32_e32 v61, 0xbf167918, v12
	v_fmac_f32_e32 v58, 0x3f167918, v12
	;; [unrolled: 1-line block ×3, first 2 shown]
	v_mul_f32_e32 v12, 0xbf167918, v6
	v_mul_f32_e32 v63, 0x3f4f1bbd, v6
	v_fmac_f32_e32 v97, 0x3f167918, v49
	v_fmac_f32_e32 v88, 0xbf167918, v49
	;; [unrolled: 1-line block ×9, first 2 shown]
	v_mul_f32_e32 v14, 0xbf737871, v98
	v_mul_f32_e32 v15, 0xbf737871, v4
	;; [unrolled: 1-line block ×6, first 2 shown]
	v_add_f32_e32 v7, v1, v7
	v_add_f32_e32 v3, v3, v107
	;; [unrolled: 1-line block ×3, first 2 shown]
	v_fmac_f32_e32 v61, 0x3e9e377a, v10
	v_fmac_f32_e32 v12, 0x3f4f1bbd, v59
	;; [unrolled: 1-line block ×12, first 2 shown]
	v_add_f32_e32 v0, v9, v3
	v_add_f32_e32 v1, v7, v8
	;; [unrolled: 1-line block ×4, first 2 shown]
	v_sub_f32_e32 v2, v9, v3
	v_sub_f32_e32 v3, v7, v8
	v_add_f32_e32 v6, v95, v14
	v_add_f32_e32 v8, v13, v15
	;; [unrolled: 1-line block ×6, first 2 shown]
	v_sub_f32_e32 v12, v61, v12
	v_sub_f32_e32 v14, v95, v14
	;; [unrolled: 1-line block ×8, first 2 shown]
	ds_write2_b64 v110, v[0:1], v[4:5] offset1:10
	ds_write2_b64 v110, v[6:7], v[8:9] offset0:20 offset1:30
	ds_write2_b64 v110, v[10:11], v[2:3] offset0:40 offset1:50
	;; [unrolled: 1-line block ×4, first 2 shown]
	s_waitcnt lgkmcnt(0)
	s_barrier
	buffer_gl0_inv
	ds_read2_b64 v[4:7], v105 offset1:90
	ds_read2_b64 v[0:3], v55 offset0:52 offset1:172
	ds_read2_b64 v[12:15], v56 offset0:88 offset1:178
	;; [unrolled: 1-line block ×3, first 2 shown]
	ds_read_b64 v[54:55], v105 offset:6240
	s_and_saveexec_b32 s0, vcc_lo
	s_cbranch_execz .LBB0_11
; %bb.10:
	ds_read_b64 v[48:49], v105 offset:2160
	ds_read_b64 v[52:53], v105 offset:4560
	;; [unrolled: 1-line block ×3, first 2 shown]
.LBB0_11:
	s_or_b32 exec_lo, exec_lo, s0
	s_waitcnt lgkmcnt(3)
	v_mul_f32_e32 v56, v17, v3
	v_mul_f32_e32 v17, v17, v2
	s_waitcnt lgkmcnt(2)
	v_mul_f32_e32 v57, v19, v13
	v_mul_f32_e32 v19, v19, v12
	s_waitcnt lgkmcnt(0)
	v_fmac_f32_e32 v56, v16, v2
	v_fma_f32 v3, v16, v3, -v17
	v_mul_f32_e32 v16, v29, v9
	v_fmac_f32_e32 v57, v18, v12
	v_mul_f32_e32 v2, v29, v8
	v_fma_f32 v12, v18, v13, -v19
	v_mul_f32_e32 v13, v31, v15
	v_fmac_f32_e32 v16, v28, v8
	v_mul_f32_e32 v8, v31, v14
	;; [unrolled: 4-line block ×3, first 2 shown]
	v_fma_f32 v14, v30, v15, -v8
	v_mul_f32_e32 v8, v35, v54
	v_fma_f32 v19, v32, v11, -v2
	v_mul_f32_e32 v2, v25, v52
	v_mul_f32_e32 v29, v27, v51
	;; [unrolled: 1-line block ×3, first 2 shown]
	v_fma_f32 v25, v34, v55, -v8
	v_mul_f32_e32 v8, v27, v50
	v_fma_f32 v27, v24, v53, -v2
	v_add_f32_e32 v2, v56, v57
	v_fmac_f32_e32 v29, v26, v50
	v_add_f32_e32 v9, v4, v56
	v_fma_f32 v26, v26, v51, -v8
	v_add_f32_e32 v8, v3, v12
	v_fmac_f32_e32 v18, v32, v10
	v_fma_f32 v2, -0.5, v2, v4
	v_sub_f32_e32 v10, v3, v12
	v_add_f32_e32 v4, v9, v57
	v_add_f32_e32 v9, v5, v3
	v_fma_f32 v3, -0.5, v8, v5
	v_sub_f32_e32 v11, v56, v57
	v_mul_f32_e32 v15, v35, v55
	v_fmac_f32_e32 v28, v24, v52
	v_add_f32_e32 v5, v9, v12
	v_fmamk_f32 v8, v10, 0xbf5db3d7, v2
	v_fmamk_f32 v9, v11, 0x3f5db3d7, v3
	v_fmac_f32_e32 v3, 0xbf5db3d7, v11
	v_add_f32_e32 v11, v17, v14
	v_fmac_f32_e32 v15, v34, v54
	v_fmac_f32_e32 v2, 0x3f5db3d7, v10
	v_add_f32_e32 v10, v16, v13
	v_add_f32_e32 v12, v6, v16
	v_sub_f32_e32 v24, v17, v14
	v_add_f32_e32 v17, v7, v17
	v_fmac_f32_e32 v7, -0.5, v11
	v_sub_f32_e32 v16, v16, v13
	v_fma_f32 v6, -0.5, v10, v6
	v_add_f32_e32 v10, v12, v13
	v_add_f32_e32 v11, v17, v14
	;; [unrolled: 1-line block ×3, first 2 shown]
	v_fmamk_f32 v13, v16, 0x3f5db3d7, v7
	v_add_f32_e32 v17, v0, v18
	v_fmac_f32_e32 v7, 0xbf5db3d7, v16
	v_add_f32_e32 v16, v19, v25
	v_fma_f32 v0, -0.5, v14, v0
	v_sub_f32_e32 v30, v19, v25
	v_add_f32_e32 v14, v17, v15
	v_add_f32_e32 v17, v1, v19
	v_fmac_f32_e32 v1, -0.5, v16
	v_sub_f32_e32 v16, v18, v15
	v_add_f32_e32 v18, v48, v28
	v_add_f32_e32 v19, v49, v27
	;; [unrolled: 1-line block ×4, first 2 shown]
	v_fmamk_f32 v25, v16, 0x3f5db3d7, v1
	v_fmac_f32_e32 v1, 0xbf5db3d7, v16
	v_add_f32_e32 v16, v27, v26
	v_fmamk_f32 v12, v24, 0xbf5db3d7, v6
	v_fmac_f32_e32 v48, -0.5, v17
	v_sub_f32_e32 v17, v27, v26
	v_sub_f32_e32 v27, v28, v29
	v_fmac_f32_e32 v49, -0.5, v16
	v_add_f32_e32 v16, v18, v29
	v_fmac_f32_e32 v6, 0x3f5db3d7, v24
	v_fmamk_f32 v18, v17, 0xbf5db3d7, v48
	v_fmac_f32_e32 v48, 0x3f5db3d7, v17
	v_add_f32_e32 v17, v19, v26
	v_fmamk_f32 v19, v27, 0x3f5db3d7, v49
	v_fmac_f32_e32 v49, 0xbf5db3d7, v27
	v_fmamk_f32 v24, v30, 0xbf5db3d7, v0
	v_fmac_f32_e32 v0, 0x3f5db3d7, v30
	s_barrier
	buffer_gl0_inv
	ds_write2_b64 v105, v[4:5], v[8:9] offset1:100
	ds_write_b64 v105, v[2:3] offset:1600
	ds_write2_b64 v111, v[10:11], v[12:13] offset1:100
	ds_write_b64 v111, v[6:7] offset:1600
	;; [unrolled: 2-line block ×3, first 2 shown]
	s_and_saveexec_b32 s0, vcc_lo
	s_cbranch_execz .LBB0_13
; %bb.12:
	v_lshl_add_u32 v0, v66, 3, v106
	v_add_nc_u32_e32 v1, 0x1000, v0
	ds_write2_b64 v1, v[16:17], v[18:19] offset0:88 offset1:188
	ds_write_b64 v0, v[48:49] offset:6400
.LBB0_13:
	s_or_b32 exec_lo, exec_lo, s0
	v_add_nc_u32_e32 v0, 0x400, v105
	v_add_nc_u32_e32 v8, 0x1000, v105
	;; [unrolled: 1-line block ×3, first 2 shown]
	s_waitcnt lgkmcnt(0)
	s_barrier
	buffer_gl0_inv
	ds_read2_b64 v[4:7], v105 offset1:90
	ds_read2_b64 v[0:3], v0 offset0:52 offset1:172
	ds_read2_b64 v[12:15], v8 offset0:88 offset1:178
	;; [unrolled: 1-line block ×3, first 2 shown]
	ds_read_b64 v[24:25], v105 offset:6240
	v_add_nc_u32_e32 v26, 0x5a0, v105
	s_and_saveexec_b32 s0, vcc_lo
	s_cbranch_execz .LBB0_15
; %bb.14:
	ds_read_b64 v[16:17], v105 offset:2160
	ds_read_b64 v[18:19], v105 offset:4560
	;; [unrolled: 1-line block ×3, first 2 shown]
.LBB0_15:
	s_or_b32 exec_lo, exec_lo, s0
	s_waitcnt lgkmcnt(3)
	v_mul_f32_e32 v27, v45, v3
	v_mul_f32_e32 v28, v45, v2
	s_waitcnt lgkmcnt(2)
	v_mul_f32_e32 v29, v47, v13
	v_mul_f32_e32 v30, v47, v12
	s_waitcnt lgkmcnt(1)
	v_mul_f32_e32 v31, v41, v11
	v_fmac_f32_e32 v27, v44, v2
	v_fma_f32 v3, v44, v3, -v28
	v_mul_f32_e32 v28, v37, v9
	v_mul_f32_e32 v2, v37, v8
	v_fmac_f32_e32 v29, v46, v12
	v_fma_f32 v12, v46, v13, -v30
	v_mul_f32_e32 v13, v39, v15
	v_fmac_f32_e32 v28, v36, v8
	v_mul_f32_e32 v8, v39, v14
	v_fma_f32 v30, v36, v9, -v2
	v_mul_f32_e32 v2, v41, v10
	v_fmac_f32_e32 v13, v38, v14
	v_fmac_f32_e32 v31, v40, v10
	v_fma_f32 v14, v38, v15, -v8
	s_waitcnt lgkmcnt(0)
	v_mul_f32_e32 v8, v43, v24
	v_fma_f32 v32, v40, v11, -v2
	v_add_f32_e32 v2, v27, v29
	v_mul_f32_e32 v15, v43, v25
	v_add_f32_e32 v9, v4, v27
	v_fma_f32 v25, v42, v25, -v8
	v_add_f32_e32 v8, v3, v12
	v_fma_f32 v2, -0.5, v2, v4
	v_sub_f32_e32 v10, v3, v12
	v_add_f32_e32 v4, v9, v29
	v_add_f32_e32 v9, v5, v3
	v_fma_f32 v3, -0.5, v8, v5
	v_sub_f32_e32 v11, v27, v29
	v_fmamk_f32 v8, v10, 0xbf5db3d7, v2
	v_fmac_f32_e32 v2, 0x3f5db3d7, v10
	v_add_f32_e32 v10, v28, v13
	v_fmac_f32_e32 v15, v42, v24
	v_add_f32_e32 v5, v9, v12
	v_fmamk_f32 v9, v11, 0x3f5db3d7, v3
	v_add_f32_e32 v12, v6, v28
	v_fmac_f32_e32 v3, 0xbf5db3d7, v11
	v_add_f32_e32 v11, v30, v14
	v_fma_f32 v6, -0.5, v10, v6
	v_sub_f32_e32 v24, v30, v14
	v_add_f32_e32 v27, v7, v30
	v_add_f32_e32 v10, v12, v13
	v_fmac_f32_e32 v7, -0.5, v11
	v_sub_f32_e32 v28, v28, v13
	v_fmamk_f32 v12, v24, 0xbf5db3d7, v6
	v_fmac_f32_e32 v6, 0x3f5db3d7, v24
	v_add_f32_e32 v11, v27, v14
	v_add_f32_e32 v14, v31, v15
	;; [unrolled: 1-line block ×3, first 2 shown]
	v_fmamk_f32 v13, v28, 0x3f5db3d7, v7
	v_fmac_f32_e32 v7, 0xbf5db3d7, v28
	v_add_f32_e32 v27, v0, v31
	v_fma_f32 v0, -0.5, v14, v0
	v_sub_f32_e32 v28, v32, v25
	v_add_f32_e32 v29, v1, v32
	v_fmac_f32_e32 v1, -0.5, v24
	v_sub_f32_e32 v30, v31, v15
	v_add_f32_e32 v14, v27, v15
	v_fmamk_f32 v24, v28, 0xbf5db3d7, v0
	v_fmac_f32_e32 v0, 0x3f5db3d7, v28
	v_add_f32_e32 v15, v29, v25
	v_fmamk_f32 v25, v30, 0x3f5db3d7, v1
	v_fmac_f32_e32 v1, 0xbf5db3d7, v30
	ds_write_b64 v105, v[4:5]
	ds_write_b64 v60, v[8:9] offset:2400
	ds_write_b64 v60, v[2:3] offset:4800
	;; [unrolled: 1-line block ×8, first 2 shown]
	s_and_saveexec_b32 s0, vcc_lo
	s_cbranch_execz .LBB0_17
; %bb.16:
	v_mul_f32_e32 v0, v21, v18
	v_mul_f32_e32 v1, v23, v48
	;; [unrolled: 1-line block ×4, first 2 shown]
	v_fma_f32 v0, v20, v19, -v0
	v_fma_f32 v3, v22, v49, -v1
	v_fmac_f32_e32 v2, v20, v18
	v_fmac_f32_e32 v4, v22, v48
	v_add_f32_e32 v7, v17, v0
	v_add_f32_e32 v1, v0, v3
	v_sub_f32_e32 v8, v0, v3
	v_add_f32_e32 v5, v2, v4
	v_sub_f32_e32 v6, v2, v4
	v_add_f32_e32 v2, v16, v2
	v_fma_f32 v1, -0.5, v1, v17
	v_add_f32_e32 v3, v7, v3
	v_fma_f32 v0, -0.5, v5, v16
	v_add_f32_e32 v2, v2, v4
	v_fmamk_f32 v5, v6, 0xbf5db3d7, v1
	v_fmac_f32_e32 v1, 0x3f5db3d7, v6
	v_fmamk_f32 v4, v8, 0x3f5db3d7, v0
	v_fmac_f32_e32 v0, 0xbf5db3d7, v8
	ds_write_b64 v105, v[2:3] offset:2160
	ds_write_b64 v60, v[0:1] offset:4560
	;; [unrolled: 1-line block ×3, first 2 shown]
.LBB0_17:
	s_or_b32 exec_lo, exec_lo, s0
	s_waitcnt lgkmcnt(0)
	s_barrier
	buffer_gl0_inv
	ds_read2_b64 v[0:3], v105 offset1:90
	v_mad_u64_u32 v[12:13], null, s10, v64, 0
	v_mad_u64_u32 v[14:15], null, s8, v65, 0
	v_add_nc_u32_e32 v4, 0x400, v105
	v_add_nc_u32_e32 v10, 0x800, v105
	s_mov_b32 s0, 0x789abcdf
	s_mov_b32 s1, 0x3f523456
	v_mov_b32_e32 v8, v13
	ds_read2_b64 v[4:7], v4 offset0:52 offset1:142
	v_mov_b32_e32 v9, v15
	s_mul_i32 s2, s9, 0x2d0
	s_mul_hi_u32 s3, s8, 0x2d0
	s_mul_i32 s6, s8, 0x2d0
	s_add_i32 s3, s3, s2
	v_mad_u64_u32 v[24:25], null, s9, v65, v[9:10]
	s_waitcnt lgkmcnt(1)
	v_mul_f32_e32 v11, v82, v1
	v_mul_f32_e32 v13, v82, v0
	;; [unrolled: 1-line block ×4, first 2 shown]
	v_fmac_f32_e32 v11, v81, v0
	v_fma_f32 v0, v81, v1, -v13
	v_fma_f32 v1, v79, v3, -v16
	v_mad_u64_u32 v[15:16], null, s11, v64, v[8:9]
	v_fmac_f32_e32 v20, v79, v2
	v_cvt_f64_f32_e32 v[16:17], v11
	v_cvt_f64_f32_e32 v[18:19], v0
	;; [unrolled: 1-line block ×3, first 2 shown]
	s_waitcnt lgkmcnt(0)
	v_mul_f32_e32 v25, v68, v4
	v_cvt_f64_f32_e32 v[20:21], v20
	v_mov_b32_e32 v13, v15
	v_mov_b32_e32 v15, v24
	v_mul_f32_e32 v24, v68, v5
	v_add_nc_u32_e32 v8, 0x1000, v105
	v_mul_f32_e32 v26, v86, v7
	v_mul_f32_e32 v27, v86, v6
	v_fma_f32 v25, v67, v5, -v25
	v_fmac_f32_e32 v24, v67, v4
	ds_read2_b64 v[0:3], v10 offset0:104 offset1:194
	ds_read2_b64 v[8:11], v8 offset0:28 offset1:118
	v_fmac_f32_e32 v26, v85, v6
	v_fma_f32 v27, v85, v7, -v27
	v_lshlrev_b64 v[12:13], 3, v[12:13]
	v_cvt_f64_f32_e32 v[6:7], v24
	v_lshlrev_b64 v[14:15], 3, v[14:15]
	v_mul_f64 v[4:5], v[16:17], s[0:1]
	v_mul_f64 v[16:17], v[18:19], s[0:1]
	;; [unrolled: 1-line block ×4, first 2 shown]
	v_cvt_f64_f32_e32 v[22:23], v25
	v_cvt_f64_f32_e32 v[24:25], v26
	v_add_co_u32 v26, vcc_lo, s4, v12
	v_add_co_ci_u32_e32 v28, vcc_lo, s5, v13, vcc_lo
	v_cvt_f64_f32_e32 v[12:13], v27
	v_add_co_u32 v14, vcc_lo, v26, v14
	v_add_co_ci_u32_e32 v15, vcc_lo, v28, v15, vcc_lo
	s_waitcnt lgkmcnt(1)
	v_mul_f32_e32 v30, v84, v1
	s_waitcnt lgkmcnt(0)
	v_mul_f32_e32 v34, v70, v11
	v_mul_f32_e32 v32, v78, v9
	v_mul_f32_e32 v33, v78, v8
	v_add_co_u32 v26, vcc_lo, v14, s6
	v_cvt_f32_f64_e32 v28, v[4:5]
	v_mul_f32_e32 v4, v84, v0
	v_add_nc_u32_e32 v5, 0x1400, v105
	v_cvt_f32_f64_e32 v29, v[16:17]
	v_cvt_f32_f64_e32 v16, v[18:19]
	v_mul_f64 v[18:19], v[6:7], s[0:1]
	v_fma_f32 v31, v83, v1, -v4
	ds_read2_b64 v[4:7], v5 offset0:80 offset1:170
	v_fmac_f32_e32 v30, v83, v0
	v_cvt_f32_f64_e32 v17, v[20:21]
	v_mul_f64 v[20:21], v[22:23], s[0:1]
	v_mul_f64 v[0:1], v[24:25], s[0:1]
	v_cvt_f64_f32_e32 v[24:25], v31
	v_cvt_f64_f32_e32 v[22:23], v30
	v_mul_f32_e32 v30, v76, v3
	v_mul_f32_e32 v31, v76, v2
	v_fmac_f32_e32 v34, v69, v10
	v_mul_f32_e32 v10, v70, v10
	v_fmac_f32_e32 v32, v77, v8
	v_fmac_f32_e32 v30, v75, v2
	v_fma_f32 v31, v75, v3, -v31
	v_fma_f32 v33, v77, v9, -v33
	;; [unrolled: 1-line block ×3, first 2 shown]
	v_mul_f64 v[12:13], v[12:13], s[0:1]
	v_cvt_f64_f32_e32 v[2:3], v30
	v_cvt_f64_f32_e32 v[8:9], v31
	v_cvt_f64_f32_e32 v[30:31], v32
	s_waitcnt lgkmcnt(0)
	v_mul_f32_e32 v36, v72, v5
	v_mul_f32_e32 v37, v72, v4
	;; [unrolled: 1-line block ×4, first 2 shown]
	v_cvt_f64_f32_e32 v[32:33], v33
	v_fmac_f32_e32 v36, v71, v4
	v_fma_f32 v11, v71, v5, -v37
	v_fmac_f32_e32 v38, v73, v6
	v_fma_f32 v39, v73, v7, -v39
	v_cvt_f64_f32_e32 v[34:35], v34
	v_cvt_f64_f32_e32 v[4:5], v10
	;; [unrolled: 1-line block ×6, first 2 shown]
	v_add_co_ci_u32_e32 v27, vcc_lo, s3, v15, vcc_lo
	global_store_dwordx2 v[14:15], v[28:29], off
	global_store_dwordx2 v[26:27], v[16:17], off
	v_cvt_f32_f64_e32 v14, v[18:19]
	v_mul_f64 v[16:17], v[22:23], s[0:1]
	v_mul_f64 v[18:19], v[24:25], s[0:1]
	;; [unrolled: 1-line block ×4, first 2 shown]
	v_cvt_f32_f64_e32 v0, v[0:1]
	v_cvt_f32_f64_e32 v1, v[12:13]
	v_mul_f64 v[12:13], v[30:31], s[0:1]
	v_mul_f64 v[22:23], v[32:33], s[0:1]
	v_cvt_f32_f64_e32 v15, v[20:21]
	v_add_co_u32 v20, vcc_lo, v26, s6
	v_mul_f64 v[24:25], v[34:35], s[0:1]
	v_mul_f64 v[4:5], v[4:5], s[0:1]
	;; [unrolled: 1-line block ×4, first 2 shown]
	v_add_co_ci_u32_e32 v21, vcc_lo, s3, v27, vcc_lo
	v_mul_f64 v[26:27], v[36:37], s[0:1]
	v_mul_f64 v[28:29], v[38:39], s[0:1]
	v_add_co_u32 v30, vcc_lo, v20, s6
	v_add_co_ci_u32_e32 v31, vcc_lo, s3, v21, vcc_lo
	v_cvt_f32_f64_e32 v16, v[16:17]
	v_cvt_f32_f64_e32 v17, v[18:19]
	v_add_co_u32 v18, vcc_lo, v30, s6
	v_add_co_ci_u32_e32 v19, vcc_lo, s3, v31, vcc_lo
	v_cvt_f32_f64_e32 v2, v[2:3]
	v_cvt_f32_f64_e32 v3, v[8:9]
	;; [unrolled: 4-line block ×3, first 2 shown]
	v_cvt_f32_f64_e32 v22, v[24:25]
	v_cvt_f32_f64_e32 v23, v[4:5]
	;; [unrolled: 1-line block ×6, first 2 shown]
	v_add_co_u32 v10, vcc_lo, v8, s6
	v_add_co_ci_u32_e32 v11, vcc_lo, s3, v9, vcc_lo
	global_store_dwordx2 v[20:21], v[14:15], off
	v_add_co_u32 v14, vcc_lo, v10, s6
	v_add_co_ci_u32_e32 v15, vcc_lo, s3, v11, vcc_lo
	global_store_dwordx2 v[30:31], v[0:1], off
	;; [unrolled: 3-line block ×4, first 2 shown]
	global_store_dwordx2 v[10:11], v[12:13], off
	global_store_dwordx2 v[14:15], v[22:23], off
	;; [unrolled: 1-line block ×4, first 2 shown]
.LBB0_18:
	s_endpgm
	.section	.rodata,"a",@progbits
	.p2align	6, 0x0
	.amdhsa_kernel bluestein_single_back_len900_dim1_sp_op_CI_CI
		.amdhsa_group_segment_fixed_size 14400
		.amdhsa_private_segment_fixed_size 0
		.amdhsa_kernarg_size 104
		.amdhsa_user_sgpr_count 6
		.amdhsa_user_sgpr_private_segment_buffer 1
		.amdhsa_user_sgpr_dispatch_ptr 0
		.amdhsa_user_sgpr_queue_ptr 0
		.amdhsa_user_sgpr_kernarg_segment_ptr 1
		.amdhsa_user_sgpr_dispatch_id 0
		.amdhsa_user_sgpr_flat_scratch_init 0
		.amdhsa_user_sgpr_private_segment_size 0
		.amdhsa_wavefront_size32 1
		.amdhsa_uses_dynamic_stack 0
		.amdhsa_system_sgpr_private_segment_wavefront_offset 0
		.amdhsa_system_sgpr_workgroup_id_x 1
		.amdhsa_system_sgpr_workgroup_id_y 0
		.amdhsa_system_sgpr_workgroup_id_z 0
		.amdhsa_system_sgpr_workgroup_info 0
		.amdhsa_system_vgpr_workitem_id 0
		.amdhsa_next_free_vgpr 140
		.amdhsa_next_free_sgpr 20
		.amdhsa_reserve_vcc 1
		.amdhsa_reserve_flat_scratch 0
		.amdhsa_float_round_mode_32 0
		.amdhsa_float_round_mode_16_64 0
		.amdhsa_float_denorm_mode_32 3
		.amdhsa_float_denorm_mode_16_64 3
		.amdhsa_dx10_clamp 1
		.amdhsa_ieee_mode 1
		.amdhsa_fp16_overflow 0
		.amdhsa_workgroup_processor_mode 1
		.amdhsa_memory_ordered 1
		.amdhsa_forward_progress 0
		.amdhsa_shared_vgpr_count 0
		.amdhsa_exception_fp_ieee_invalid_op 0
		.amdhsa_exception_fp_denorm_src 0
		.amdhsa_exception_fp_ieee_div_zero 0
		.amdhsa_exception_fp_ieee_overflow 0
		.amdhsa_exception_fp_ieee_underflow 0
		.amdhsa_exception_fp_ieee_inexact 0
		.amdhsa_exception_int_div_zero 0
	.end_amdhsa_kernel
	.text
.Lfunc_end0:
	.size	bluestein_single_back_len900_dim1_sp_op_CI_CI, .Lfunc_end0-bluestein_single_back_len900_dim1_sp_op_CI_CI
                                        ; -- End function
	.section	.AMDGPU.csdata,"",@progbits
; Kernel info:
; codeLenInByte = 10328
; NumSgprs: 22
; NumVgprs: 140
; ScratchSize: 0
; MemoryBound: 0
; FloatMode: 240
; IeeeMode: 1
; LDSByteSize: 14400 bytes/workgroup (compile time only)
; SGPRBlocks: 2
; VGPRBlocks: 17
; NumSGPRsForWavesPerEU: 22
; NumVGPRsForWavesPerEU: 140
; Occupancy: 7
; WaveLimiterHint : 1
; COMPUTE_PGM_RSRC2:SCRATCH_EN: 0
; COMPUTE_PGM_RSRC2:USER_SGPR: 6
; COMPUTE_PGM_RSRC2:TRAP_HANDLER: 0
; COMPUTE_PGM_RSRC2:TGID_X_EN: 1
; COMPUTE_PGM_RSRC2:TGID_Y_EN: 0
; COMPUTE_PGM_RSRC2:TGID_Z_EN: 0
; COMPUTE_PGM_RSRC2:TIDIG_COMP_CNT: 0
	.text
	.p2alignl 6, 3214868480
	.fill 48, 4, 3214868480
	.type	__hip_cuid_29015275642cbead,@object ; @__hip_cuid_29015275642cbead
	.section	.bss,"aw",@nobits
	.globl	__hip_cuid_29015275642cbead
__hip_cuid_29015275642cbead:
	.byte	0                               ; 0x0
	.size	__hip_cuid_29015275642cbead, 1

	.ident	"AMD clang version 19.0.0git (https://github.com/RadeonOpenCompute/llvm-project roc-6.4.0 25133 c7fe45cf4b819c5991fe208aaa96edf142730f1d)"
	.section	".note.GNU-stack","",@progbits
	.addrsig
	.addrsig_sym __hip_cuid_29015275642cbead
	.amdgpu_metadata
---
amdhsa.kernels:
  - .args:
      - .actual_access:  read_only
        .address_space:  global
        .offset:         0
        .size:           8
        .value_kind:     global_buffer
      - .actual_access:  read_only
        .address_space:  global
        .offset:         8
        .size:           8
        .value_kind:     global_buffer
      - .actual_access:  read_only
        .address_space:  global
        .offset:         16
        .size:           8
        .value_kind:     global_buffer
      - .actual_access:  read_only
        .address_space:  global
        .offset:         24
        .size:           8
        .value_kind:     global_buffer
      - .actual_access:  read_only
        .address_space:  global
        .offset:         32
        .size:           8
        .value_kind:     global_buffer
      - .offset:         40
        .size:           8
        .value_kind:     by_value
      - .address_space:  global
        .offset:         48
        .size:           8
        .value_kind:     global_buffer
      - .address_space:  global
        .offset:         56
        .size:           8
        .value_kind:     global_buffer
      - .address_space:  global
        .offset:         64
        .size:           8
        .value_kind:     global_buffer
      - .address_space:  global
        .offset:         72
        .size:           8
        .value_kind:     global_buffer
      - .offset:         80
        .size:           4
        .value_kind:     by_value
      - .address_space:  global
        .offset:         88
        .size:           8
        .value_kind:     global_buffer
      - .address_space:  global
        .offset:         96
        .size:           8
        .value_kind:     global_buffer
    .group_segment_fixed_size: 14400
    .kernarg_segment_align: 8
    .kernarg_segment_size: 104
    .language:       OpenCL C
    .language_version:
      - 2
      - 0
    .max_flat_workgroup_size: 180
    .name:           bluestein_single_back_len900_dim1_sp_op_CI_CI
    .private_segment_fixed_size: 0
    .sgpr_count:     22
    .sgpr_spill_count: 0
    .symbol:         bluestein_single_back_len900_dim1_sp_op_CI_CI.kd
    .uniform_work_group_size: 1
    .uses_dynamic_stack: false
    .vgpr_count:     140
    .vgpr_spill_count: 0
    .wavefront_size: 32
    .workgroup_processor_mode: 1
amdhsa.target:   amdgcn-amd-amdhsa--gfx1030
amdhsa.version:
  - 1
  - 2
...

	.end_amdgpu_metadata
